;; amdgpu-corpus repo=ROCm/rocFFT kind=compiled arch=gfx950 opt=O3
	.text
	.amdgcn_target "amdgcn-amd-amdhsa--gfx950"
	.amdhsa_code_object_version 6
	.protected	fft_rtc_fwd_len429_factors_13_3_11_wgs_117_tpt_39_dp_ip_CI_unitstride_sbrr_dirReg ; -- Begin function fft_rtc_fwd_len429_factors_13_3_11_wgs_117_tpt_39_dp_ip_CI_unitstride_sbrr_dirReg
	.globl	fft_rtc_fwd_len429_factors_13_3_11_wgs_117_tpt_39_dp_ip_CI_unitstride_sbrr_dirReg
	.p2align	8
	.type	fft_rtc_fwd_len429_factors_13_3_11_wgs_117_tpt_39_dp_ip_CI_unitstride_sbrr_dirReg,@function
fft_rtc_fwd_len429_factors_13_3_11_wgs_117_tpt_39_dp_ip_CI_unitstride_sbrr_dirReg: ; @fft_rtc_fwd_len429_factors_13_3_11_wgs_117_tpt_39_dp_ip_CI_unitstride_sbrr_dirReg
; %bb.0:
	s_load_dwordx2 s[8:9], s[0:1], 0x50
	s_load_dwordx4 s[4:7], s[0:1], 0x0
	s_load_dwordx2 s[10:11], s[0:1], 0x18
	v_mul_u32_u24_e32 v1, 0x691, v0
	v_lshrrev_b32_e32 v2, 16, v1
	v_mad_u64_u32 v[64:65], s[2:3], s2, 3, v[2:3]
	v_mov_b32_e32 v4, 0
	v_mov_b32_e32 v65, v4
	s_waitcnt lgkmcnt(0)
	v_cmp_lt_u64_e64 s[2:3], s[6:7], 2
	s_and_b64 vcc, exec, s[2:3]
	v_mov_b64_e32 v[2:3], 0
	v_mov_b64_e32 v[8:9], v[64:65]
	s_cbranch_vccnz .LBB0_8
; %bb.1:
	s_load_dwordx2 s[2:3], s[0:1], 0x10
	s_add_u32 s12, s10, 8
	s_addc_u32 s13, s11, 0
	s_mov_b64 s[14:15], 1
	v_mov_b64_e32 v[2:3], 0
	s_waitcnt lgkmcnt(0)
	s_add_u32 s16, s2, 8
	s_addc_u32 s17, s3, 0
	v_mov_b64_e32 v[6:7], v[64:65]
.LBB0_2:                                ; =>This Inner Loop Header: Depth=1
	s_load_dwordx2 s[18:19], s[16:17], 0x0
                                        ; implicit-def: $vgpr8_vgpr9
	s_waitcnt lgkmcnt(0)
	v_or_b32_e32 v5, s19, v7
	v_cmp_ne_u64_e32 vcc, 0, v[4:5]
	s_and_saveexec_b64 s[2:3], vcc
	s_xor_b64 s[20:21], exec, s[2:3]
	s_cbranch_execz .LBB0_4
; %bb.3:                                ;   in Loop: Header=BB0_2 Depth=1
	v_cvt_f32_u32_e32 v1, s18
	v_cvt_f32_u32_e32 v5, s19
	s_sub_u32 s2, 0, s18
	s_subb_u32 s3, 0, s19
	v_fmac_f32_e32 v1, 0x4f800000, v5
	v_rcp_f32_e32 v1, v1
	s_nop 0
	v_mul_f32_e32 v1, 0x5f7ffffc, v1
	v_mul_f32_e32 v5, 0x2f800000, v1
	v_trunc_f32_e32 v5, v5
	v_fmac_f32_e32 v1, 0xcf800000, v5
	v_cvt_u32_f32_e32 v5, v5
	v_cvt_u32_f32_e32 v1, v1
	v_mul_lo_u32 v8, s2, v5
	v_mul_hi_u32 v10, s2, v1
	v_mul_lo_u32 v9, s3, v1
	v_add_u32_e32 v10, v10, v8
	v_mul_lo_u32 v12, s2, v1
	v_add_u32_e32 v13, v10, v9
	v_mul_hi_u32 v8, v1, v12
	v_mul_hi_u32 v11, v1, v13
	v_mul_lo_u32 v10, v1, v13
	v_mov_b32_e32 v9, v4
	v_lshl_add_u64 v[8:9], v[8:9], 0, v[10:11]
	v_mul_hi_u32 v11, v5, v12
	v_mul_lo_u32 v12, v5, v12
	v_add_co_u32_e32 v8, vcc, v8, v12
	v_mul_hi_u32 v10, v5, v13
	s_nop 0
	v_addc_co_u32_e32 v8, vcc, v9, v11, vcc
	v_mov_b32_e32 v9, v4
	s_nop 0
	v_addc_co_u32_e32 v11, vcc, 0, v10, vcc
	v_mul_lo_u32 v10, v5, v13
	v_lshl_add_u64 v[8:9], v[8:9], 0, v[10:11]
	v_add_co_u32_e32 v1, vcc, v1, v8
	v_mul_lo_u32 v10, s2, v1
	s_nop 0
	v_addc_co_u32_e32 v5, vcc, v5, v9, vcc
	v_mul_lo_u32 v8, s2, v5
	v_mul_hi_u32 v9, s2, v1
	v_add_u32_e32 v8, v9, v8
	v_mul_lo_u32 v9, s3, v1
	v_add_u32_e32 v12, v8, v9
	v_mul_hi_u32 v14, v5, v10
	v_mul_lo_u32 v15, v5, v10
	v_mul_hi_u32 v9, v1, v12
	v_mul_lo_u32 v8, v1, v12
	v_mul_hi_u32 v10, v1, v10
	v_mov_b32_e32 v11, v4
	v_lshl_add_u64 v[8:9], v[10:11], 0, v[8:9]
	v_add_co_u32_e32 v8, vcc, v8, v15
	v_mul_hi_u32 v13, v5, v12
	s_nop 0
	v_addc_co_u32_e32 v8, vcc, v9, v14, vcc
	v_mul_lo_u32 v10, v5, v12
	s_nop 0
	v_addc_co_u32_e32 v11, vcc, 0, v13, vcc
	v_mov_b32_e32 v9, v4
	v_lshl_add_u64 v[8:9], v[8:9], 0, v[10:11]
	v_add_co_u32_e32 v1, vcc, v1, v8
	v_mul_hi_u32 v10, v6, v1
	s_nop 0
	v_addc_co_u32_e32 v5, vcc, v5, v9, vcc
	v_mad_u64_u32 v[8:9], s[2:3], v6, v5, 0
	v_mov_b32_e32 v11, v4
	v_lshl_add_u64 v[8:9], v[10:11], 0, v[8:9]
	v_mad_u64_u32 v[12:13], s[2:3], v7, v1, 0
	v_add_co_u32_e32 v1, vcc, v8, v12
	v_mad_u64_u32 v[10:11], s[2:3], v7, v5, 0
	s_nop 0
	v_addc_co_u32_e32 v8, vcc, v9, v13, vcc
	v_mov_b32_e32 v9, v4
	s_nop 0
	v_addc_co_u32_e32 v11, vcc, 0, v11, vcc
	v_lshl_add_u64 v[8:9], v[8:9], 0, v[10:11]
	v_mul_lo_u32 v1, s19, v8
	v_mul_lo_u32 v5, s18, v9
	v_mad_u64_u32 v[10:11], s[2:3], s18, v8, 0
	v_add3_u32 v1, v11, v5, v1
	v_sub_u32_e32 v5, v7, v1
	v_mov_b32_e32 v11, s19
	v_sub_co_u32_e32 v14, vcc, v6, v10
	v_lshl_add_u64 v[12:13], v[8:9], 0, 1
	s_nop 0
	v_subb_co_u32_e64 v5, s[2:3], v5, v11, vcc
	v_subrev_co_u32_e64 v10, s[2:3], s18, v14
	v_subb_co_u32_e32 v1, vcc, v7, v1, vcc
	s_nop 0
	v_subbrev_co_u32_e64 v5, s[2:3], 0, v5, s[2:3]
	v_cmp_le_u32_e64 s[2:3], s19, v5
	v_cmp_le_u32_e32 vcc, s19, v1
	s_nop 0
	v_cndmask_b32_e64 v11, 0, -1, s[2:3]
	v_cmp_le_u32_e64 s[2:3], s18, v10
	s_nop 1
	v_cndmask_b32_e64 v10, 0, -1, s[2:3]
	v_cmp_eq_u32_e64 s[2:3], s19, v5
	s_nop 1
	v_cndmask_b32_e64 v5, v11, v10, s[2:3]
	v_lshl_add_u64 v[10:11], v[8:9], 0, 2
	v_cmp_ne_u32_e64 s[2:3], 0, v5
	s_nop 1
	v_cndmask_b32_e64 v5, v13, v11, s[2:3]
	v_cndmask_b32_e64 v11, 0, -1, vcc
	v_cmp_le_u32_e32 vcc, s18, v14
	s_nop 1
	v_cndmask_b32_e64 v13, 0, -1, vcc
	v_cmp_eq_u32_e32 vcc, s19, v1
	s_nop 1
	v_cndmask_b32_e32 v1, v11, v13, vcc
	v_cmp_ne_u32_e32 vcc, 0, v1
	v_cndmask_b32_e64 v1, v12, v10, s[2:3]
	s_nop 0
	v_cndmask_b32_e32 v9, v9, v5, vcc
	v_cndmask_b32_e32 v8, v8, v1, vcc
.LBB0_4:                                ;   in Loop: Header=BB0_2 Depth=1
	s_andn2_saveexec_b64 s[2:3], s[20:21]
	s_cbranch_execz .LBB0_6
; %bb.5:                                ;   in Loop: Header=BB0_2 Depth=1
	v_cvt_f32_u32_e32 v1, s18
	s_sub_i32 s20, 0, s18
	v_rcp_iflag_f32_e32 v1, v1
	s_nop 0
	v_mul_f32_e32 v1, 0x4f7ffffe, v1
	v_cvt_u32_f32_e32 v1, v1
	v_mul_lo_u32 v5, s20, v1
	v_mul_hi_u32 v5, v1, v5
	v_add_u32_e32 v1, v1, v5
	v_mul_hi_u32 v1, v6, v1
	v_mul_lo_u32 v5, v1, s18
	v_sub_u32_e32 v5, v6, v5
	v_add_u32_e32 v8, 1, v1
	v_subrev_u32_e32 v9, s18, v5
	v_cmp_le_u32_e32 vcc, s18, v5
	s_nop 1
	v_cndmask_b32_e32 v5, v5, v9, vcc
	v_cndmask_b32_e32 v1, v1, v8, vcc
	v_add_u32_e32 v8, 1, v1
	v_cmp_le_u32_e32 vcc, s18, v5
	v_mov_b32_e32 v9, v4
	s_nop 0
	v_cndmask_b32_e32 v8, v1, v8, vcc
.LBB0_6:                                ;   in Loop: Header=BB0_2 Depth=1
	s_or_b64 exec, exec, s[2:3]
	v_mad_u64_u32 v[10:11], s[2:3], v8, s18, 0
	s_load_dwordx2 s[2:3], s[12:13], 0x0
	v_mul_lo_u32 v1, v9, s18
	v_mul_lo_u32 v5, v8, s19
	v_add3_u32 v1, v11, v5, v1
	v_sub_co_u32_e32 v5, vcc, v6, v10
	s_add_u32 s14, s14, 1
	s_nop 0
	v_subb_co_u32_e32 v1, vcc, v7, v1, vcc
	s_addc_u32 s15, s15, 0
	s_waitcnt lgkmcnt(0)
	v_mul_lo_u32 v1, s2, v1
	v_mul_lo_u32 v6, s3, v5
	v_mad_u64_u32 v[2:3], s[2:3], s2, v5, v[2:3]
	s_add_u32 s12, s12, 8
	v_add3_u32 v3, v6, v3, v1
	s_addc_u32 s13, s13, 0
	v_mov_b64_e32 v[6:7], s[6:7]
	s_add_u32 s16, s16, 8
	v_cmp_ge_u64_e32 vcc, s[14:15], v[6:7]
	s_addc_u32 s17, s17, 0
	s_cbranch_vccnz .LBB0_8
; %bb.7:                                ;   in Loop: Header=BB0_2 Depth=1
	v_mov_b64_e32 v[6:7], v[8:9]
	s_branch .LBB0_2
.LBB0_8:
	s_lshl_b64 s[2:3], s[6:7], 3
	s_add_u32 s2, s10, s2
	s_addc_u32 s3, s11, s3
	s_load_dwordx2 s[6:7], s[2:3], 0x0
	s_load_dwordx2 s[10:11], s[0:1], 0x20
	v_mov_b32_e32 v78, 0
                                        ; implicit-def: $vgpr62_vgpr63
                                        ; implicit-def: $vgpr58_vgpr59
                                        ; implicit-def: $vgpr54_vgpr55
                                        ; implicit-def: $vgpr50_vgpr51
                                        ; implicit-def: $vgpr46_vgpr47
                                        ; implicit-def: $vgpr42_vgpr43
                                        ; implicit-def: $vgpr38_vgpr39
                                        ; implicit-def: $vgpr34_vgpr35
                                        ; implicit-def: $vgpr30_vgpr31
                                        ; implicit-def: $vgpr26_vgpr27
                                        ; implicit-def: $vgpr22_vgpr23
                                        ; implicit-def: $vgpr18_vgpr19
                                        ; implicit-def: $vgpr14_vgpr15
	s_waitcnt lgkmcnt(0)
	v_mad_u64_u32 v[76:77], s[0:1], s6, v8, v[2:3]
	v_mul_lo_u32 v1, s6, v9
	v_mul_lo_u32 v4, s7, v8
	s_mov_b32 s0, 0x6906907
	v_add3_u32 v77, v4, v77, v1
	v_mul_hi_u32 v1, v0, s0
	v_mul_u32_u24_e32 v1, 39, v1
	v_cmp_gt_u64_e32 vcc, s[10:11], v[8:9]
	v_sub_u32_e32 v80, v0, v1
	s_and_saveexec_b64 s[2:3], vcc
	s_cbranch_execz .LBB0_12
; %bb.9:
	v_cmp_gt_u32_e64 s[0:1], 33, v80
                                        ; implicit-def: $vgpr12_vgpr13
                                        ; implicit-def: $vgpr16_vgpr17
                                        ; implicit-def: $vgpr20_vgpr21
                                        ; implicit-def: $vgpr24_vgpr25
                                        ; implicit-def: $vgpr28_vgpr29
                                        ; implicit-def: $vgpr32_vgpr33
                                        ; implicit-def: $vgpr36_vgpr37
                                        ; implicit-def: $vgpr40_vgpr41
                                        ; implicit-def: $vgpr44_vgpr45
                                        ; implicit-def: $vgpr48_vgpr49
                                        ; implicit-def: $vgpr52_vgpr53
                                        ; implicit-def: $vgpr56_vgpr57
                                        ; implicit-def: $vgpr60_vgpr61
	s_and_saveexec_b64 s[6:7], s[0:1]
	s_cbranch_execz .LBB0_11
; %bb.10:
	v_mov_b32_e32 v81, 0
	v_lshl_add_u64 v[0:1], v[76:77], 4, s[8:9]
	v_lshl_add_u64 v[0:1], v[80:81], 4, v[0:1]
	global_load_dwordx4 v[12:15], v[0:1], off
	global_load_dwordx4 v[16:19], v[0:1], off offset:528
	global_load_dwordx4 v[20:23], v[0:1], off offset:1056
	global_load_dwordx4 v[24:27], v[0:1], off offset:1584
	global_load_dwordx4 v[28:31], v[0:1], off offset:2112
	global_load_dwordx4 v[32:35], v[0:1], off offset:2640
	global_load_dwordx4 v[36:39], v[0:1], off offset:3168
	global_load_dwordx4 v[40:43], v[0:1], off offset:3696
	s_movk_i32 s0, 0x1000
	v_add_co_u32_e64 v0, s[0:1], s0, v0
	s_nop 1
	v_addc_co_u32_e64 v1, s[0:1], 0, v1, s[0:1]
	global_load_dwordx4 v[44:47], v[0:1], off offset:128
	global_load_dwordx4 v[48:51], v[0:1], off offset:656
	global_load_dwordx4 v[52:55], v[0:1], off offset:1184
	global_load_dwordx4 v[56:59], v[0:1], off offset:1712
	global_load_dwordx4 v[60:63], v[0:1], off offset:2240
.LBB0_11:
	s_or_b64 exec, exec, s[6:7]
	v_mov_b32_e32 v78, v80
.LBB0_12:
	s_or_b64 exec, exec, s[2:3]
	s_mov_b32 s2, 0x1ea71119
	s_waitcnt vmcnt(0)
	v_add_f64 v[82:83], v[60:61], v[16:17]
	s_mov_b32 s3, 0x3fe22d96
	s_mov_b32 s10, 0x42a4c3d2
	s_mov_b32 s6, 0xb2365da1
	v_add_f64 v[84:85], v[18:19], -v[62:63]
	s_mov_b32 s11, 0xbfea55e2
	v_mul_f64 v[92:93], v[82:83], s[2:3]
	s_mov_b32 s7, 0xbfd6b1d8
	s_mov_b32 s14, 0x2ef20147
	v_add_f64 v[86:87], v[56:57], v[20:21]
	v_fma_f64 v[0:1], s[10:11], v[84:85], v[92:93]
	s_mov_b32 s15, 0xbfedeba7
	v_add_f64 v[94:95], v[22:23], -v[58:59]
	v_mul_f64 v[104:105], v[86:87], s[6:7]
	v_add_f64 v[98:99], v[16:17], -v[60:61]
	v_add_f64 v[0:1], v[12:13], v[0:1]
	v_fma_f64 v[2:3], s[14:15], v[94:95], v[104:105]
	v_add_f64 v[88:89], v[62:63], v[18:19]
	v_mul_f64 v[110:111], v[98:99], s[10:11]
	v_add_f64 v[100:101], v[20:21], -v[56:57]
	s_mov_b32 s12, 0x93053d00
	v_add_f64 v[0:1], v[2:3], v[0:1]
	v_fma_f64 v[2:3], v[88:89], s[2:3], -v[110:111]
	v_add_f64 v[90:91], v[58:59], v[22:23]
	v_mul_f64 v[112:113], v[100:101], s[14:15]
	s_mov_b32 s13, 0xbfef11f4
	s_mov_b32 s18, 0x4bc48dbf
	v_add_f64 v[96:97], v[52:53], v[24:25]
	v_add_f64 v[2:3], v[14:15], v[2:3]
	v_fma_f64 v[4:5], v[90:91], s[6:7], -v[112:113]
	s_mov_b32 s19, 0xbfcea1e5
	v_add_f64 v[106:107], v[26:27], -v[54:55]
	v_mul_f64 v[120:121], v[96:97], s[12:13]
	v_add_f64 v[116:117], v[24:25], -v[52:53]
	s_mov_b32 s16, 0xd0032e0c
	v_add_f64 v[2:3], v[4:5], v[2:3]
	v_fma_f64 v[4:5], s[18:19], v[106:107], v[120:121]
	v_add_f64 v[102:103], v[54:55], v[26:27]
	v_mul_f64 v[126:127], v[116:117], s[18:19]
	s_mov_b32 s17, 0xbfe7f3cc
	s_mov_b32 s34, 0x24c2f84
	v_add_f64 v[108:109], v[48:49], v[28:29]
	v_add_f64 v[0:1], v[4:5], v[0:1]
	v_fma_f64 v[4:5], v[102:103], s[12:13], -v[126:127]
	s_mov_b32 s35, 0x3fe5384d
	v_add_f64 v[122:123], v[30:31], -v[50:51]
	v_mul_f64 v[134:135], v[108:109], s[16:17]
	v_add_f64 v[130:131], v[28:29], -v[48:49]
	s_mov_b32 s20, 0xebaa3ed8
	v_add_f64 v[2:3], v[4:5], v[2:3]
	v_fma_f64 v[4:5], s[34:35], v[122:123], v[134:135]
	v_add_f64 v[114:115], v[50:51], v[30:31]
	v_mul_f64 v[138:139], v[130:131], s[34:35]
	s_mov_b32 s21, 0x3fbedb7d
	s_mov_b32 s24, 0x66966769
	v_add_f64 v[118:119], v[44:45], v[32:33]
	v_add_f64 v[0:1], v[4:5], v[0:1]
	v_fma_f64 v[4:5], v[114:115], s[16:17], -v[138:139]
	s_mov_b32 s25, 0xbfefc445
	s_mov_b32 s37, 0x3fefc445
	;; [unrolled: 1-line block ×3, first 2 shown]
	v_add_f64 v[132:133], v[34:35], -v[46:47]
	v_mul_f64 v[144:145], v[118:119], s[20:21]
	v_add_f64 v[140:141], v[32:33], -v[44:45]
	s_mov_b32 s22, 0xe00740e9
	v_add_f64 v[2:3], v[4:5], v[2:3]
	v_fma_f64 v[4:5], s[36:37], v[132:133], v[144:145]
	v_add_f64 v[124:125], v[46:47], v[34:35]
	v_mul_f64 v[146:147], v[140:141], s[36:37]
	s_mov_b32 s23, 0x3fec55a7
	v_add_f64 v[128:129], v[40:41], v[36:37]
	v_add_f64 v[0:1], v[4:5], v[0:1]
	v_fma_f64 v[4:5], v[124:125], s[20:21], -v[146:147]
	s_mov_b32 s29, 0x3fddbe06
	s_mov_b32 s28, 0x4267c47c
	v_add_f64 v[142:143], v[38:39], -v[42:43]
	v_mul_f64 v[150:151], v[128:129], s[22:23]
	v_add_f64 v[148:149], v[36:37], -v[40:41]
	v_add_f64 v[2:3], v[4:5], v[2:3]
	v_fma_f64 v[4:5], s[28:29], v[142:143], v[150:151]
	v_add_f64 v[136:137], v[42:43], v[38:39]
	v_mul_f64 v[152:153], v[148:149], s[28:29]
	v_add_f64 v[0:1], v[4:5], v[0:1]
	v_fma_f64 v[4:5], v[136:137], s[22:23], -v[152:153]
	v_mul_f64 v[154:155], v[82:83], s[20:21]
	v_add_f64 v[2:3], v[4:5], v[2:3]
	v_fma_f64 v[4:5], s[24:25], v[84:85], v[154:155]
	v_mul_f64 v[156:157], v[86:87], s[12:13]
	v_add_f64 v[4:5], v[12:13], v[4:5]
	v_fma_f64 v[6:7], s[18:19], v[94:95], v[156:157]
	v_mul_f64 v[160:161], v[98:99], s[24:25]
	v_add_f64 v[4:5], v[6:7], v[4:5]
	v_fma_f64 v[6:7], v[88:89], s[20:21], -v[160:161]
	v_mul_f64 v[164:165], v[100:101], s[18:19]
	v_add_f64 v[6:7], v[14:15], v[6:7]
	v_fma_f64 v[8:9], v[90:91], s[12:13], -v[164:165]
	s_mov_b32 s39, 0x3fedeba7
	s_mov_b32 s38, s14
	v_mul_f64 v[158:159], v[96:97], s[6:7]
	v_add_f64 v[6:7], v[8:9], v[6:7]
	v_fma_f64 v[8:9], s[38:39], v[106:107], v[158:159]
	v_mul_f64 v[168:169], v[116:117], s[38:39]
	v_add_f64 v[4:5], v[8:9], v[4:5]
	v_fma_f64 v[8:9], v[102:103], s[6:7], -v[168:169]
	v_mul_f64 v[162:163], v[108:109], s[22:23]
	v_add_f64 v[6:7], v[8:9], v[6:7]
	v_fma_f64 v[8:9], s[28:29], v[122:123], v[162:163]
	v_mul_f64 v[170:171], v[130:131], s[28:29]
	v_add_f64 v[4:5], v[8:9], v[4:5]
	v_fma_f64 v[8:9], v[114:115], s[22:23], -v[170:171]
	;; [unrolled: 6-line block ×3, first 2 shown]
	s_mov_b32 s31, 0xbfe5384d
	s_mov_b32 s30, s34
	v_mul_f64 v[172:173], v[128:129], s[16:17]
	v_add_f64 v[6:7], v[8:9], v[6:7]
	v_fma_f64 v[8:9], s[30:31], v[142:143], v[172:173]
	v_mul_f64 v[176:177], v[148:149], s[30:31]
	v_add_f64 v[4:5], v[8:9], v[4:5]
	v_fma_f64 v[8:9], v[136:137], s[16:17], -v[176:177]
	v_mul_f64 v[178:179], v[82:83], s[6:7]
	v_add_f64 v[6:7], v[8:9], v[6:7]
	v_fma_f64 v[8:9], s[14:15], v[84:85], v[178:179]
	v_mul_f64 v[182:183], v[86:87], s[16:17]
	v_add_f64 v[8:9], v[12:13], v[8:9]
	v_fma_f64 v[10:11], s[34:35], v[94:95], v[182:183]
	v_mul_f64 v[194:195], v[98:99], s[14:15]
	v_add_f64 v[8:9], v[10:11], v[8:9]
	v_fma_f64 v[10:11], v[88:89], s[6:7], -v[194:195]
	v_mul_f64 v[200:201], v[100:101], s[34:35]
	v_add_f64 v[10:11], v[14:15], v[10:11]
	v_fma_f64 v[66:67], v[90:91], s[16:17], -v[200:201]
	v_mul_f64 v[186:187], v[96:97], s[22:23]
	v_add_f64 v[10:11], v[66:67], v[10:11]
	v_fma_f64 v[66:67], s[28:29], v[106:107], v[186:187]
	v_mul_f64 v[204:205], v[116:117], s[28:29]
	v_add_f64 v[8:9], v[66:67], v[8:9]
	v_fma_f64 v[66:67], v[102:103], s[22:23], -v[204:205]
	v_mul_f64 v[190:191], v[108:109], s[20:21]
	v_add_f64 v[10:11], v[66:67], v[10:11]
	v_fma_f64 v[66:67], s[24:25], v[122:123], v[190:191]
	v_mul_f64 v[208:209], v[130:131], s[24:25]
	s_mov_b32 s0, 0xaaaaaaab
	v_add_f64 v[8:9], v[66:67], v[8:9]
	v_fma_f64 v[66:67], v[114:115], s[20:21], -v[208:209]
	s_mov_b32 s41, 0x3fcea1e5
	s_mov_b32 s40, s18
	v_mul_f64 v[198:199], v[118:119], s[12:13]
	v_mul_hi_u32 v65, v64, s0
	v_add_f64 v[10:11], v[66:67], v[10:11]
	v_fma_f64 v[66:67], s[40:41], v[132:133], v[198:199]
	v_mul_f64 v[210:211], v[140:141], s[40:41]
	v_lshrrev_b32_e32 v65, 1, v65
	v_add_f64 v[8:9], v[66:67], v[8:9]
	v_fma_f64 v[66:67], v[124:125], s[12:13], -v[210:211]
	s_mov_b32 s43, 0x3fea55e2
	s_mov_b32 s42, s10
	v_mul_f64 v[206:207], v[128:129], s[2:3]
	v_lshl_add_u32 v65, v65, 1, v65
	v_add_f64 v[10:11], v[66:67], v[10:11]
	v_fma_f64 v[66:67], s[42:43], v[142:143], v[206:207]
	v_mul_f64 v[212:213], v[148:149], s[42:43]
	v_sub_u32_e32 v64, v64, v65
	v_add_f64 v[8:9], v[66:67], v[8:9]
	v_fma_f64 v[66:67], v[136:137], s[2:3], -v[212:213]
	v_mul_u32_u24_e32 v64, 0x1ad, v64
	v_add_f64 v[10:11], v[66:67], v[10:11]
	v_cmp_gt_u32_e64 s[0:1], 33, v80
	v_lshlrev_b32_e32 v79, 4, v64
	s_and_saveexec_b64 s[26:27], s[0:1]
	s_cbranch_execz .LBB0_14
; %bb.13:
	v_mul_f64 v[234:235], v[98:99], s[18:19]
	v_mul_f64 v[230:231], v[100:101], s[28:29]
	v_fma_f64 v[236:237], v[88:89], s[12:13], -v[234:235]
	v_mul_f64 v[248:249], v[84:85], s[18:19]
	v_mul_f64 v[214:215], v[116:117], s[30:31]
	v_fma_f64 v[232:233], v[90:91], s[22:23], -v[230:231]
	v_add_f64 v[236:237], v[14:15], v[236:237]
	v_mul_f64 v[244:245], v[94:95], s[28:29]
	v_fma_f64 v[250:251], s[12:13], v[82:83], v[248:249]
	v_mul_f64 v[72:73], v[130:131], s[42:43]
	v_fma_f64 v[216:217], v[102:103], s[16:17], -v[214:215]
	v_add_f64 v[232:233], v[232:233], v[236:237]
	v_mul_f64 v[240:241], v[106:107], s[30:31]
	v_fma_f64 v[246:247], s[22:23], v[86:87], v[244:245]
	v_add_f64 v[250:251], v[12:13], v[250:251]
	v_mul_f64 v[70:71], v[140:141], s[14:15]
	v_fma_f64 v[74:75], v[114:115], s[2:3], -v[72:73]
	v_add_f64 v[216:217], v[216:217], v[232:233]
	v_mul_f64 v[236:237], v[122:123], s[42:43]
	v_fma_f64 v[242:243], s[16:17], v[96:97], v[240:241]
	v_add_f64 v[246:247], v[246:247], v[250:251]
	;; [unrolled: 6-line block ×3, first 2 shown]
	v_fma_f64 v[64:65], v[136:137], s[20:21], -v[68:69]
	v_add_f64 v[66:67], v[66:67], v[74:75]
	v_mul_f64 v[74:75], v[142:143], s[36:37]
	v_fma_f64 v[232:233], s[6:7], v[118:119], v[216:217]
	v_add_f64 v[238:239], v[238:239], v[242:243]
	v_add_f64 v[66:67], v[64:65], v[66:67]
	v_fma_f64 v[64:65], s[20:21], v[128:129], v[74:75]
	v_add_f64 v[232:233], v[232:233], v[238:239]
	v_fmac_f64_e32 v[234:235], s[12:13], v[88:89]
	v_add_f64 v[64:65], v[64:65], v[232:233]
	v_fmac_f64_e32 v[230:231], s[22:23], v[90:91]
	;; [unrolled: 2-line block ×5, first 2 shown]
	v_add_f64 v[72:73], v[72:73], v[214:215]
	v_fma_f64 v[230:231], v[82:83], s[12:13], -v[248:249]
	v_mul_f64 v[242:243], v[98:99], s[30:31]
	v_add_f64 v[70:71], v[70:71], v[72:73]
	v_fma_f64 v[72:73], v[118:119], s[6:7], -v[216:217]
	v_fma_f64 v[216:217], v[86:87], s[22:23], -v[244:245]
	v_add_f64 v[230:231], v[12:13], v[230:231]
	v_mul_f64 v[238:239], v[100:101], s[36:37]
	v_fma_f64 v[244:245], v[88:89], s[16:17], -v[242:243]
	v_fmac_f64_e32 v[68:69], s[20:21], v[136:137]
	v_fma_f64 v[214:215], v[96:97], s[16:17], -v[240:241]
	v_add_f64 v[216:217], v[216:217], v[230:231]
	v_mul_f64 v[234:235], v[116:117], s[10:11]
	v_fma_f64 v[240:241], v[90:91], s[20:21], -v[238:239]
	v_add_f64 v[244:245], v[14:15], v[244:245]
	v_add_f64 v[70:71], v[68:69], v[70:71]
	v_fma_f64 v[68:69], v[128:129], s[20:21], -v[74:75]
	v_fma_f64 v[74:75], v[108:109], s[2:3], -v[236:237]
	v_add_f64 v[214:215], v[214:215], v[216:217]
	v_mul_f64 v[230:231], v[130:131], s[40:41]
	v_fma_f64 v[236:237], v[102:103], s[2:3], -v[234:235]
	v_add_f64 v[240:241], v[240:241], v[244:245]
	v_add_f64 v[74:75], v[74:75], v[214:215]
	v_mul_f64 v[216:217], v[140:141], s[28:29]
	v_fma_f64 v[232:233], v[114:115], s[12:13], -v[230:231]
	v_add_f64 v[236:237], v[236:237], v[240:241]
	;; [unrolled: 4-line block ×3, first 2 shown]
	v_mul_f64 v[248:249], v[84:85], s[30:31]
	v_fmac_f64_e32 v[242:243], s[16:17], v[88:89]
	v_add_f64 v[68:69], v[68:69], v[72:73]
	v_fma_f64 v[72:73], v[136:137], s[6:7], -v[214:215]
	v_add_f64 v[74:75], v[74:75], v[232:233]
	v_mul_f64 v[246:247], v[94:95], s[36:37]
	v_fma_f64 v[250:251], s[16:17], v[82:83], v[248:249]
	v_fmac_f64_e32 v[238:239], s[20:21], v[90:91]
	v_add_f64 v[242:243], v[14:15], v[242:243]
	v_fma_f64 v[248:249], v[82:83], s[16:17], -v[248:249]
	v_add_f64 v[74:75], v[72:73], v[74:75]
	v_mul_f64 v[244:245], v[106:107], s[10:11]
	v_fma_f64 v[72:73], s[20:21], v[86:87], v[246:247]
	v_add_f64 v[250:251], v[12:13], v[250:251]
	v_add_f64 v[238:239], v[238:239], v[242:243]
	v_fmac_f64_e32 v[234:235], s[2:3], v[102:103]
	v_fma_f64 v[246:247], v[86:87], s[20:21], -v[246:247]
	v_add_f64 v[248:249], v[12:13], v[248:249]
	v_mul_f64 v[240:241], v[122:123], s[40:41]
	v_add_f64 v[72:73], v[72:73], v[250:251]
	v_fma_f64 v[250:251], s[2:3], v[96:97], v[244:245]
	v_add_f64 v[234:235], v[234:235], v[238:239]
	v_fmac_f64_e32 v[230:231], s[12:13], v[114:115]
	v_add_f64 v[246:247], v[246:247], v[248:249]
	v_fma_f64 v[244:245], v[96:97], s[2:3], -v[244:245]
	v_mul_f64 v[236:237], v[132:133], s[28:29]
	v_add_f64 v[72:73], v[250:251], v[72:73]
	v_fma_f64 v[250:251], s[12:13], v[108:109], v[240:241]
	v_add_f64 v[230:231], v[230:231], v[234:235]
	v_fmac_f64_e32 v[216:217], s[22:23], v[124:125]
	v_add_f64 v[244:245], v[244:245], v[246:247]
	v_fma_f64 v[240:241], v[108:109], s[12:13], -v[240:241]
	v_mul_f64 v[232:233], v[142:143], s[14:15]
	v_add_f64 v[72:73], v[250:251], v[72:73]
	v_fma_f64 v[250:251], s[22:23], v[118:119], v[236:237]
	v_add_f64 v[216:217], v[216:217], v[230:231]
	v_add_f64 v[240:241], v[240:241], v[244:245]
	v_fma_f64 v[236:237], v[118:119], s[22:23], -v[236:237]
	v_fmac_f64_e32 v[214:215], s[6:7], v[136:137]
	v_mul_f64 v[222:223], v[88:89], s[6:7]
	v_add_f64 v[236:237], v[236:237], v[240:241]
	v_add_f64 v[216:217], v[214:215], v[216:217]
	v_fma_f64 v[214:215], v[128:129], s[6:7], -v[232:233]
	v_mul_f64 v[188:189], v[88:89], s[2:3]
	v_mul_f64 v[228:229], v[90:91], s[16:17]
	v_add_f64 v[214:215], v[214:215], v[236:237]
	v_mul_f64 v[236:237], v[136:137], s[2:3]
	v_add_f64 v[194:195], v[222:223], v[194:195]
	v_mul_f64 v[180:181], v[84:85], s[10:11]
	v_mul_f64 v[192:193], v[90:91], s[6:7]
	;; [unrolled: 1-line block ×3, first 2 shown]
	v_add_f64 v[212:213], v[236:237], v[212:213]
	v_mul_f64 v[236:237], v[124:125], s[12:13]
	v_add_f64 v[200:201], v[228:229], v[200:201]
	v_add_f64 v[194:195], v[14:15], v[194:195]
	;; [unrolled: 1-line block ×3, first 2 shown]
	v_mul_f64 v[184:185], v[94:95], s[14:15]
	v_add_f64 v[72:73], v[250:251], v[72:73]
	v_fma_f64 v[250:251], s[6:7], v[128:129], v[232:233]
	v_mul_f64 v[252:253], v[102:103], s[12:13]
	v_add_f64 v[210:211], v[236:237], v[210:211]
	v_mul_f64 v[236:237], v[114:115], s[20:21]
	v_add_f64 v[204:205], v[230:231], v[204:205]
	v_add_f64 v[194:195], v[200:201], v[194:195]
	;; [unrolled: 1-line block ×4, first 2 shown]
	v_add_f64 v[92:93], v[92:93], -v[180:181]
	v_add_f64 v[72:73], v[250:251], v[72:73]
	v_mul_f64 v[250:251], v[106:107], s[18:19]
	v_mul_f64 v[234:235], v[106:107], s[28:29]
	;; [unrolled: 1-line block ×3, first 2 shown]
	v_add_f64 v[208:209], v[236:237], v[208:209]
	v_mul_f64 v[236:237], v[132:133], s[36:37]
	v_add_f64 v[194:195], v[204:205], v[194:195]
	v_mul_f64 v[204:205], v[142:143], s[28:29]
	v_add_f64 v[126:127], v[252:253], v[126:127]
	v_add_f64 v[110:111], v[112:113], v[110:111]
	v_add_f64 v[104:105], v[104:105], -v[184:185]
	v_add_f64 v[92:93], v[12:13], v[92:93]
	s_mov_b32 s29, 0xbfddbe06
	v_mul_f64 v[246:247], v[114:115], s[16:17]
	v_add_f64 v[110:111], v[126:127], v[110:111]
	v_add_f64 v[126:127], v[144:145], -v[236:237]
	v_add_f64 v[120:121], v[120:121], -v[250:251]
	v_add_f64 v[92:93], v[104:105], v[92:93]
	v_mul_f64 v[144:145], v[98:99], s[28:29]
	v_mul_f64 v[248:249], v[122:123], s[34:35]
	;; [unrolled: 1-line block ×3, first 2 shown]
	v_add_f64 v[138:139], v[246:247], v[138:139]
	v_add_f64 v[92:93], v[120:121], v[92:93]
	v_mul_f64 v[120:121], v[140:141], s[30:31]
	v_mul_f64 v[140:141], v[100:101], s[10:11]
	v_fma_f64 v[98:99], v[88:89], s[22:23], -v[144:145]
	v_add_f64 v[194:195], v[208:209], v[194:195]
	v_mul_f64 v[208:209], v[136:137], s[22:23]
	v_add_f64 v[146:147], v[230:231], v[146:147]
	v_add_f64 v[110:111], v[138:139], v[110:111]
	v_add_f64 v[134:135], v[134:135], -v[248:249]
	v_mul_f64 v[116:117], v[116:117], s[24:25]
	v_fma_f64 v[100:101], v[90:91], s[2:3], -v[140:141]
	v_add_f64 v[98:99], v[14:15], v[98:99]
	v_add_f64 v[152:153], v[208:209], v[152:153]
	;; [unrolled: 1-line block ×4, first 2 shown]
	v_mul_f64 v[130:131], v[130:131], s[14:15]
	v_fma_f64 v[138:139], v[102:103], s[20:21], -v[116:117]
	v_add_f64 v[98:99], v[100:101], v[98:99]
	v_add_f64 v[112:113], v[152:153], v[110:111]
	v_add_f64 v[110:111], v[150:151], -v[204:205]
	v_add_f64 v[92:93], v[126:127], v[92:93]
	v_fma_f64 v[134:135], v[114:115], s[6:7], -v[130:131]
	v_add_f64 v[98:99], v[138:139], v[98:99]
	v_add_f64 v[110:111], v[110:111], v[92:93]
	v_mul_f64 v[92:93], v[148:149], s[18:19]
	v_fma_f64 v[126:127], v[124:125], s[16:17], -v[120:121]
	v_add_f64 v[98:99], v[134:135], v[98:99]
	v_mul_f64 v[146:147], v[84:85], s[28:29]
	v_mul_f64 v[196:197], v[84:85], s[24:25]
	;; [unrolled: 1-line block ×5, first 2 shown]
	v_add_f64 v[194:195], v[210:211], v[194:195]
	v_mul_f64 v[210:211], v[142:143], s[42:43]
	v_fma_f64 v[104:105], v[136:137], s[12:13], -v[92:93]
	v_add_f64 v[98:99], v[126:127], v[98:99]
	v_mul_f64 v[94:95], v[94:95], s[10:11]
	v_fma_f64 v[84:85], s[22:23], v[82:83], v[146:147]
	v_mul_f64 v[242:243], v[106:107], s[38:39]
	v_add_f64 v[206:207], v[206:207], -v[210:211]
	v_mul_f64 v[210:211], v[142:143], s[30:31]
	v_add_f64 v[100:101], v[104:105], v[98:99]
	v_mul_f64 v[104:105], v[142:143], s[18:19]
	v_mul_f64 v[106:107], v[106:107], s[24:25]
	v_fma_f64 v[142:143], s[2:3], v[86:87], v[94:95]
	v_add_f64 v[84:85], v[12:13], v[84:85]
	v_mul_f64 v[232:233], v[122:123], s[24:25]
	v_mul_f64 v[122:123], v[122:123], s[14:15]
	v_fma_f64 v[138:139], s[20:21], v[96:97], v[106:107]
	v_add_f64 v[84:85], v[142:143], v[84:85]
	v_mul_f64 v[126:127], v[132:133], s[30:31]
	v_fma_f64 v[134:135], s[6:7], v[108:109], v[122:123]
	v_add_f64 v[84:85], v[138:139], v[84:85]
	v_mul_f64 v[218:219], v[88:89], s[20:21]
	v_mul_f64 v[228:229], v[132:133], s[10:11]
	v_mul_f64 v[200:201], v[132:133], s[40:41]
	v_fma_f64 v[132:133], s[16:17], v[118:119], v[126:127]
	v_add_f64 v[84:85], v[134:135], v[84:85]
	v_add_f64 v[178:179], v[178:179], -v[220:221]
	v_add_f64 v[160:161], v[218:219], v[160:161]
	v_add_f64 v[154:155], v[154:155], -v[196:197]
	v_fma_f64 v[98:99], s[12:13], v[128:129], v[104:105]
	v_add_f64 v[84:85], v[132:133], v[84:85]
	v_fmac_f64_e32 v[144:145], s[22:23], v[88:89]
	v_fma_f64 v[82:83], v[82:83], s[22:23], -v[146:147]
	v_add_f64 v[178:179], v[12:13], v[178:179]
	v_add_f64 v[160:161], v[14:15], v[160:161]
	;; [unrolled: 1-line block ×14, first 2 shown]
	v_fmac_f64_e32 v[140:141], s[2:3], v[90:91]
	v_add_f64 v[14:15], v[34:35], v[14:15]
	v_add_f64 v[12:13], v[32:33], v[12:13]
	v_fmac_f64_e32 v[116:117], s[20:21], v[102:103]
	v_add_f64 v[84:85], v[140:141], v[84:85]
	v_add_f64 v[14:15], v[38:39], v[14:15]
	;; [unrolled: 1-line block ×3, first 2 shown]
	v_mul_f64 v[224:225], v[90:91], s[12:13]
	v_fmac_f64_e32 v[130:131], s[6:7], v[114:115]
	v_add_f64 v[84:85], v[116:117], v[84:85]
	v_add_f64 v[14:15], v[42:43], v[14:15]
	;; [unrolled: 1-line block ×3, first 2 shown]
	v_mul_f64 v[238:239], v[102:103], s[6:7]
	v_add_f64 v[182:183], v[182:183], -v[226:227]
	v_add_f64 v[164:165], v[224:225], v[164:165]
	v_add_f64 v[156:157], v[156:157], -v[202:203]
	v_fmac_f64_e32 v[120:121], s[16:17], v[124:125]
	v_add_f64 v[84:85], v[130:131], v[84:85]
	v_fma_f64 v[86:87], v[86:87], s[2:3], -v[94:95]
	v_add_f64 v[14:15], v[46:47], v[14:15]
	v_add_f64 v[12:13], v[44:45], v[12:13]
	v_mul_f64 v[240:241], v[114:115], s[22:23]
	v_add_f64 v[186:187], v[186:187], -v[234:235]
	v_add_f64 v[178:179], v[182:183], v[178:179]
	v_add_f64 v[168:169], v[238:239], v[168:169]
	;; [unrolled: 1-line block ×3, first 2 shown]
	v_add_f64 v[158:159], v[158:159], -v[242:243]
	v_add_f64 v[154:155], v[156:157], v[154:155]
	v_fmac_f64_e32 v[92:93], s[12:13], v[136:137]
	v_add_f64 v[84:85], v[120:121], v[84:85]
	v_fma_f64 v[96:97], v[96:97], s[20:21], -v[106:107]
	v_add_f64 v[82:83], v[86:87], v[82:83]
	v_add_f64 v[14:15], v[50:51], v[14:15]
	;; [unrolled: 1-line block ×3, first 2 shown]
	v_mul_f64 v[222:223], v[124:125], s[2:3]
	v_add_f64 v[190:191], v[190:191], -v[232:233]
	v_add_f64 v[178:179], v[186:187], v[178:179]
	v_add_f64 v[170:171], v[240:241], v[170:171]
	;; [unrolled: 1-line block ×3, first 2 shown]
	v_add_f64 v[162:163], v[162:163], -v[244:245]
	v_add_f64 v[154:155], v[158:159], v[154:155]
	v_add_f64 v[84:85], v[92:93], v[84:85]
	v_fma_f64 v[92:93], v[108:109], s[6:7], -v[122:123]
	v_add_f64 v[82:83], v[96:97], v[82:83]
	v_add_f64 v[14:15], v[54:55], v[14:15]
	;; [unrolled: 1-line block ×3, first 2 shown]
	v_add_f64 v[198:199], v[198:199], -v[200:201]
	v_mul_f64 v[254:255], v[136:137], s[16:17]
	v_add_f64 v[178:179], v[190:191], v[178:179]
	v_add_f64 v[174:175], v[222:223], v[174:175]
	v_add_f64 v[160:161], v[170:171], v[160:161]
	v_add_f64 v[166:167], v[166:167], -v[228:229]
	v_add_f64 v[154:155], v[162:163], v[154:155]
	v_fma_f64 v[90:91], v[118:119], s[16:17], -v[126:127]
	v_add_f64 v[82:83], v[92:93], v[82:83]
	v_add_f64 v[14:15], v[58:59], v[14:15]
	v_add_f64 v[12:13], v[56:57], v[12:13]
	v_mul_u32_u24_e32 v16, 0xd0, v80
	v_add_f64 v[178:179], v[198:199], v[178:179]
	v_add_f64 v[176:177], v[254:255], v[176:177]
	;; [unrolled: 1-line block ×3, first 2 shown]
	v_add_f64 v[164:165], v[172:173], -v[210:211]
	v_add_f64 v[154:155], v[166:167], v[154:155]
	v_fma_f64 v[88:89], v[128:129], s[12:13], -v[104:105]
	v_add_f64 v[82:83], v[90:91], v[82:83]
	v_add_f64 v[14:15], v[62:63], v[14:15]
	;; [unrolled: 1-line block ×3, first 2 shown]
	v_add3_u32 v16, 0, v16, v79
	v_add_f64 v[200:201], v[212:213], v[194:195]
	v_add_f64 v[198:199], v[206:207], v[178:179]
	;; [unrolled: 1-line block ×5, first 2 shown]
	ds_write_b128 v16, v[12:15]
	ds_write_b128 v16, v[82:85] offset:16
	ds_write_b128 v16, v[110:113] offset:32
	;; [unrolled: 1-line block ×12, first 2 shown]
.LBB0_14:
	s_or_b64 exec, exec, s[26:27]
	v_lshlrev_b32_e32 v12, 4, v80
	v_add3_u32 v49, 0, v79, v12
	s_waitcnt lgkmcnt(0)
	s_barrier
	v_add3_u32 v48, 0, v12, v79
	ds_read_b128 v[20:23], v49
	ds_read_b128 v[16:19], v48 offset:624
	ds_read_b128 v[32:35], v48 offset:4576
	;; [unrolled: 1-line block ×8, first 2 shown]
	v_cmp_gt_u32_e64 s[0:1], 26, v80
	s_and_saveexec_b64 s[2:3], s[0:1]
	s_cbranch_execz .LBB0_16
; %bb.15:
	ds_read_b128 v[8:11], v48 offset:1872
	ds_read_b128 v[4:7], v48 offset:4160
	;; [unrolled: 1-line block ×3, first 2 shown]
.LBB0_16:
	s_or_b64 exec, exec, s[2:3]
	s_movk_i32 s12, 0x4f
	v_mul_lo_u16_sdwa v50, v80, s12 dst_sel:DWORD dst_unused:UNUSED_PAD src0_sel:BYTE_0 src1_sel:DWORD
	v_lshrrev_b16_e32 v51, 10, v50
	v_mul_lo_u16_e32 v50, 13, v51
	v_sub_u16_e32 v81, v80, v50
	v_mov_b32_e32 v50, 5
	v_lshlrev_b32_sdwa v60, v50, v81 dst_sel:DWORD dst_unused:UNUSED_PAD src0_sel:DWORD src1_sel:BYTE_0
	global_load_dwordx4 v[52:55], v60, s[4:5] offset:16
	global_load_dwordx4 v[56:59], v60, s[4:5]
	v_add_u16_e32 v60, 39, v80
	v_mul_lo_u16_sdwa v61, v60, s12 dst_sel:DWORD dst_unused:UNUSED_PAD src0_sel:BYTE_0 src1_sel:DWORD
	v_lshrrev_b16_e32 v94, 10, v61
	v_mul_lo_u16_e32 v61, 13, v94
	v_sub_u16_e32 v95, v60, v61
	v_lshlrev_b32_sdwa v68, v50, v95 dst_sel:DWORD dst_unused:UNUSED_PAD src0_sel:DWORD src1_sel:BYTE_0
	global_load_dwordx4 v[60:63], v68, s[4:5] offset:16
	global_load_dwordx4 v[64:67], v68, s[4:5]
	v_add_u16_e32 v68, 0x4e, v80
	v_mul_lo_u16_sdwa v69, v68, s12 dst_sel:DWORD dst_unused:UNUSED_PAD src0_sel:BYTE_0 src1_sel:DWORD
	v_lshrrev_b16_e32 v96, 10, v69
	v_mul_lo_u16_e32 v69, 13, v96
	v_sub_u16_e32 v97, v68, v69
	v_lshlrev_b32_sdwa v82, v50, v97 dst_sel:DWORD dst_unused:UNUSED_PAD src0_sel:DWORD src1_sel:BYTE_0
	global_load_dwordx4 v[68:71], v82, s[4:5]
	global_load_dwordx4 v[72:75], v82, s[4:5] offset:16
	s_mov_b32 s2, 0xe8584caa
	s_mov_b32 s3, 0x3febb67a
	;; [unrolled: 1-line block ×4, first 2 shown]
	s_movk_i32 s13, 0x270
	s_waitcnt lgkmcnt(0)
	s_barrier
	s_waitcnt vmcnt(5)
	v_mul_f64 v[84:85], v[34:35], v[54:55]
	s_waitcnt vmcnt(4)
	v_mul_f64 v[82:83], v[46:47], v[58:59]
	v_mul_f64 v[58:59], v[44:45], v[58:59]
	;; [unrolled: 1-line block ×3, first 2 shown]
	v_fma_f64 v[44:45], v[44:45], v[56:57], -v[82:83]
	v_fmac_f64_e32 v[58:59], v[46:47], v[56:57]
	v_fma_f64 v[32:33], v[32:33], v[52:53], -v[84:85]
	s_waitcnt vmcnt(3)
	v_mul_f64 v[88:89], v[26:27], v[62:63]
	s_waitcnt vmcnt(2)
	v_mul_f64 v[86:87], v[42:43], v[66:67]
	v_fmac_f64_e32 v[54:55], v[34:35], v[52:53]
	v_fma_f64 v[34:35], v[40:41], v[64:65], -v[86:87]
	v_mul_f64 v[66:67], v[40:41], v[66:67]
	v_mul_f64 v[62:63], v[24:25], v[62:63]
	v_fma_f64 v[24:25], v[24:25], v[60:61], -v[88:89]
	s_waitcnt vmcnt(1)
	v_mul_f64 v[90:91], v[38:39], v[70:71]
	v_mul_f64 v[70:71], v[36:37], v[70:71]
	s_waitcnt vmcnt(0)
	v_mul_f64 v[92:93], v[30:31], v[74:75]
	v_mul_f64 v[74:75], v[28:29], v[74:75]
	v_fmac_f64_e32 v[70:71], v[38:39], v[68:69]
	v_fmac_f64_e32 v[74:75], v[30:31], v[72:73]
	v_fma_f64 v[46:47], v[36:37], v[68:69], -v[90:91]
	v_fma_f64 v[56:57], v[28:29], v[72:73], -v[92:93]
	v_add_f64 v[28:29], v[44:45], v[32:33]
	v_add_f64 v[30:31], v[22:23], v[58:59]
	;; [unrolled: 1-line block ×3, first 2 shown]
	v_add_f64 v[68:69], v[70:71], -v[74:75]
	v_add_f64 v[72:73], v[14:15], v[70:71]
	v_add_f64 v[70:71], v[70:71], v[74:75]
	v_fmac_f64_e32 v[66:67], v[42:43], v[64:65]
	v_fmac_f64_e32 v[62:63], v[26:27], v[60:61]
	v_add_f64 v[26:27], v[20:21], v[44:45]
	v_add_f64 v[42:43], v[44:45], -v[32:33]
	v_add_f64 v[44:45], v[34:35], v[24:25]
	v_add_f64 v[64:65], v[34:35], -v[24:25]
	v_fmac_f64_e32 v[20:21], -0.5, v[28:29]
	v_add_f64 v[28:29], v[30:31], v[54:55]
	v_add_f64 v[30:31], v[38:39], v[24:25]
	v_fmac_f64_e32 v[14:15], -0.5, v[70:71]
	v_add_f64 v[24:25], v[46:47], -v[56:57]
	v_add_f64 v[40:41], v[58:59], -v[54:55]
	v_add_f64 v[36:37], v[58:59], v[54:55]
	v_fma_f64 v[54:55], s[6:7], v[24:25], v[14:15]
	v_fmac_f64_e32 v[14:15], s[2:3], v[24:25]
	v_mov_b32_e32 v24, 4
	v_add_f64 v[52:53], v[66:67], -v[62:63]
	v_add_f64 v[58:59], v[18:19], v[66:67]
	v_add_f64 v[60:61], v[66:67], v[62:63]
	;; [unrolled: 1-line block ×4, first 2 shown]
	v_mad_u32_u24 v25, v51, s13, 0
	v_lshlrev_b32_sdwa v46, v24, v81 dst_sel:DWORD dst_unused:UNUSED_PAD src0_sel:DWORD src1_sel:BYTE_0
	v_add_f64 v[26:27], v[26:27], v[32:33]
	v_fmac_f64_e32 v[22:23], -0.5, v[36:37]
	v_fma_f64 v[38:39], s[2:3], v[40:41], v[20:21]
	v_fmac_f64_e32 v[20:21], s[6:7], v[40:41]
	v_add3_u32 v25, v25, v46, v79
	v_fmac_f64_e32 v[16:17], -0.5, v[44:45]
	v_fma_f64 v[40:41], s[6:7], v[42:43], v[22:23]
	v_fmac_f64_e32 v[22:23], s[2:3], v[42:43]
	ds_write_b128 v25, v[26:29]
	ds_write_b128 v25, v[38:41] offset:208
	ds_write_b128 v25, v[20:23] offset:416
	v_mad_u32_u24 v20, v94, s13, 0
	v_lshlrev_b32_sdwa v21, v24, v95 dst_sel:DWORD dst_unused:UNUSED_PAD src0_sel:DWORD src1_sel:BYTE_0
	v_add_f64 v[32:33], v[58:59], v[62:63]
	v_fmac_f64_e32 v[18:19], -0.5, v[60:61]
	v_fma_f64 v[42:43], s[2:3], v[52:53], v[16:17]
	v_fmac_f64_e32 v[16:17], s[6:7], v[52:53]
	v_add3_u32 v20, v20, v21, v79
	v_fma_f64 v[44:45], s[6:7], v[64:65], v[18:19]
	v_fmac_f64_e32 v[18:19], s[2:3], v[64:65]
	ds_write_b128 v20, v[30:33]
	ds_write_b128 v20, v[42:45] offset:208
	ds_write_b128 v20, v[16:19] offset:416
	v_mad_u32_u24 v16, v96, s13, 0
	v_lshlrev_b32_sdwa v17, v24, v97 dst_sel:DWORD dst_unused:UNUSED_PAD src0_sel:DWORD src1_sel:BYTE_0
	v_add_f64 v[34:35], v[34:35], v[56:57]
	v_fmac_f64_e32 v[12:13], -0.5, v[66:67]
	v_add_f64 v[36:37], v[72:73], v[74:75]
	v_add3_u32 v16, v16, v17, v79
	v_fma_f64 v[52:53], s[2:3], v[68:69], v[12:13]
	v_fmac_f64_e32 v[12:13], s[6:7], v[68:69]
	ds_write_b128 v16, v[34:37]
	ds_write_b128 v16, v[52:55] offset:208
	ds_write_b128 v16, v[12:15] offset:416
	s_and_saveexec_b64 s[10:11], s[0:1]
	s_cbranch_execz .LBB0_18
; %bb.17:
	v_add_u16_e32 v12, 0x75, v80
	v_mul_lo_u16_sdwa v13, v12, s12 dst_sel:DWORD dst_unused:UNUSED_PAD src0_sel:BYTE_0 src1_sel:DWORD
	v_lshrrev_b16_e32 v20, 10, v13
	v_mul_lo_u16_e32 v13, 13, v20
	v_sub_u16_e32 v21, v12, v13
	v_lshlrev_b32_sdwa v22, v50, v21 dst_sel:DWORD dst_unused:UNUSED_PAD src0_sel:DWORD src1_sel:BYTE_0
	global_load_dwordx4 v[12:15], v22, s[4:5]
	global_load_dwordx4 v[16:19], v22, s[4:5] offset:16
	v_mad_u32_u24 v20, v20, s13, 0
	v_lshlrev_b32_sdwa v21, v24, v21 dst_sel:DWORD dst_unused:UNUSED_PAD src0_sel:DWORD src1_sel:BYTE_0
	v_add3_u32 v24, v20, v21, v79
	s_waitcnt vmcnt(1)
	v_mul_f64 v[20:21], v[6:7], v[14:15]
	s_waitcnt vmcnt(0)
	v_mul_f64 v[22:23], v[2:3], v[18:19]
	v_mul_f64 v[14:15], v[4:5], v[14:15]
	;; [unrolled: 1-line block ×3, first 2 shown]
	v_fma_f64 v[4:5], v[4:5], v[12:13], -v[20:21]
	v_fma_f64 v[20:21], v[0:1], v[16:17], -v[22:23]
	v_fmac_f64_e32 v[14:15], v[6:7], v[12:13]
	v_fmac_f64_e32 v[18:19], v[2:3], v[16:17]
	v_add_f64 v[12:13], v[4:5], -v[20:21]
	v_add_f64 v[0:1], v[14:15], v[18:19]
	v_add_f64 v[6:7], v[10:11], v[14:15]
	;; [unrolled: 1-line block ×4, first 2 shown]
	v_add_f64 v[14:15], v[14:15], -v[18:19]
	v_fma_f64 v[2:3], -0.5, v[0:1], v[10:11]
	v_add_f64 v[6:7], v[6:7], v[18:19]
	v_fma_f64 v[0:1], -0.5, v[16:17], v[8:9]
	v_add_f64 v[4:5], v[4:5], v[20:21]
	v_fma_f64 v[10:11], s[2:3], v[12:13], v[2:3]
	v_fmac_f64_e32 v[2:3], s[6:7], v[12:13]
	v_fma_f64 v[8:9], s[6:7], v[14:15], v[0:1]
	v_fmac_f64_e32 v[0:1], s[2:3], v[14:15]
	ds_write_b128 v24, v[4:7]
	ds_write_b128 v24, v[0:3] offset:208
	ds_write_b128 v24, v[8:11] offset:416
.LBB0_18:
	s_or_b64 exec, exec, s[10:11]
	s_waitcnt lgkmcnt(0)
	s_barrier
	s_and_saveexec_b64 s[0:1], vcc
	s_cbranch_execz .LBB0_20
; %bb.19:
	v_mul_u32_u24_e32 v0, 10, v80
	v_lshlrev_b32_e32 v0, 4, v0
	global_load_dwordx4 v[8:11], v0, s[4:5] offset:480
	global_load_dwordx4 v[4:7], v0, s[4:5] offset:496
	;; [unrolled: 1-line block ×10, first 2 shown]
	ds_read_b128 v[28:31], v48 offset:3120
	ds_read_b128 v[34:37], v48 offset:2496
	;; [unrolled: 1-line block ×8, first 2 shown]
	ds_read_b128 v[0:3], v49
	ds_read_b128 v[102:105], v48 offset:624
	ds_read_b128 v[106:109], v48 offset:6240
	s_mov_b32 s18, 0x9bcd5057
	s_mov_b32 s10, 0x8764f0ba
	s_mov_b32 s19, 0xbfeeb42a
	s_mov_b32 s24, 0xfd768dbf
	s_mov_b32 s4, 0x7f775887
	s_mov_b32 s11, 0x3feaeb8c
	s_mov_b32 s16, 0xf8bb580b
	s_mov_b32 s25, 0x3fd207e7
	s_mov_b32 s27, 0xbfd207e7
	s_mov_b32 s26, s24
	s_mov_b32 s2, 0xd9c712b6
	s_mov_b32 s5, 0xbfe4f49e
	s_mov_b32 s14, 0xbb3a28a1
	s_mov_b32 s17, 0xbfe14ced
	s_mov_b32 s31, 0x3fe14ced
	s_mov_b32 s30, s16
	s_mov_b32 s0, 0x640f44db
	s_mov_b32 s3, 0x3fda9628
	s_mov_b32 s6, 0x8eee2c13
	s_mov_b32 s15, 0x3fe82f19
	s_mov_b32 s23, 0xbfe82f19
	s_mov_b32 s22, s14
	s_mov_b32 s1, 0xbfc2375f
	s_mov_b32 s12, 0x43842ef
	s_mov_b32 s7, 0xbfed1bb4
	s_mov_b32 s29, 0x3fed1bb4
	s_mov_b32 s28, s6
	s_mov_b32 s13, 0x3fefac9e
	s_mov_b32 s21, 0xbfefac9e
	s_mov_b32 s20, s12
	v_mov_b32_e32 v79, 0
	s_waitcnt vmcnt(9) lgkmcnt(10)
	v_mul_f64 v[20:21], v[8:9], v[30:31]
	s_waitcnt vmcnt(8) lgkmcnt(8)
	v_mul_f64 v[22:23], v[4:5], v[42:43]
	v_mul_f64 v[30:31], v[10:11], v[30:31]
	;; [unrolled: 1-line block ×3, first 2 shown]
	s_waitcnt vmcnt(6) lgkmcnt(7)
	v_mul_f64 v[24:25], v[16:17], v[68:69]
	v_mul_f64 v[48:49], v[18:19], v[68:69]
	s_waitcnt vmcnt(5) lgkmcnt(6)
	v_mul_f64 v[38:39], v[50:51], v[72:73]
	s_waitcnt vmcnt(4) lgkmcnt(4)
	v_mul_f64 v[32:33], v[54:55], v[96:97]
	v_mul_f64 v[68:69], v[52:53], v[72:73]
	;; [unrolled: 1-line block ×5, first 2 shown]
	s_waitcnt vmcnt(3)
	v_mul_f64 v[74:75], v[60:61], v[88:89]
	v_fmac_f64_e32 v[20:21], v[10:11], v[28:29]
	v_fma_f64 v[28:29], v[28:29], v[8:9], -v[30:31]
	v_fma_f64 v[30:31], v[40:41], v[4:5], -v[42:43]
	v_fmac_f64_e32 v[38:39], v[52:53], v[70:71]
	v_fmac_f64_e32 v[32:33], v[56:57], v[94:95]
	v_fma_f64 v[42:43], v[94:95], v[54:55], -v[72:73]
	s_waitcnt vmcnt(1) lgkmcnt(1)
	v_mul_f64 v[52:53], v[82:83], v[104:105]
	s_waitcnt vmcnt(0) lgkmcnt(0)
	v_mul_f64 v[54:55], v[90:91], v[108:109]
	v_mul_f64 v[56:57], v[84:85], v[104:105]
	;; [unrolled: 1-line block ×4, first 2 shown]
	v_fmac_f64_e32 v[22:23], v[6:7], v[40:41]
	v_fmac_f64_e32 v[26:27], v[14:15], v[34:35]
	v_fma_f64 v[40:41], v[34:35], v[12:13], -v[46:47]
	v_fma_f64 v[34:35], v[66:67], v[16:17], -v[48:49]
	;; [unrolled: 1-line block ×4, first 2 shown]
	v_fmac_f64_e32 v[52:53], v[84:85], v[102:103]
	v_fmac_f64_e32 v[54:55], v[92:93], v[106:107]
	v_fma_f64 v[58:59], v[102:103], v[82:83], -v[56:57]
	v_mul_f64 v[56:57], v[92:93], v[108:109]
	v_mul_f64 v[80:81], v[64:65], v[100:101]
	v_fmac_f64_e32 v[44:45], v[60:61], v[86:87]
	v_fmac_f64_e32 v[36:37], v[64:65], v[98:99]
	v_add_f64 v[88:89], v[52:53], v[54:55]
	v_fma_f64 v[56:57], v[106:107], v[90:91], -v[56:57]
	v_fma_f64 v[46:47], v[98:99], v[62:63], -v[80:81]
	v_add_f64 v[80:81], v[44:45], v[36:37]
	v_mul_f64 v[110:111], v[88:89], s[18:19]
	v_add_f64 v[68:69], v[58:59], -v[56:57]
	v_add_f64 v[118:119], v[52:53], -v[54:55]
	v_fmac_f64_e32 v[24:25], v[18:19], v[66:67]
	v_add_f64 v[74:75], v[38:39], v[32:33]
	v_add_f64 v[66:67], v[50:51], -v[46:47]
	v_mul_f64 v[14:15], v[80:81], s[10:11]
	v_fma_f64 v[82:83], s[24:25], v[68:69], v[110:111]
	v_add_f64 v[100:101], v[44:45], -v[36:37]
	v_add_f64 v[92:93], v[58:59], v[56:57]
	v_mul_f64 v[114:115], v[118:119], s[26:27]
	v_add_f64 v[72:73], v[26:27], v[24:25]
	v_add_f64 v[64:65], v[48:49], -v[42:43]
	v_mul_f64 v[12:13], v[74:75], s[4:5]
	v_fma_f64 v[18:19], s[16:17], v[66:67], v[14:15]
	v_add_f64 v[82:83], v[2:3], v[82:83]
	v_add_f64 v[98:99], v[38:39], -v[32:33]
	v_add_f64 v[90:91], v[50:51], v[46:47]
	v_mul_f64 v[108:109], v[100:101], s[30:31]
	v_fma_f64 v[116:117], s[18:19], v[92:93], v[114:115]
	v_add_f64 v[70:71], v[20:21], v[22:23]
	v_add_f64 v[62:63], v[40:41], -v[34:35]
	v_mul_f64 v[10:11], v[72:73], s[2:3]
	v_fma_f64 v[16:17], s[14:15], v[64:65], v[12:13]
	v_add_f64 v[18:19], v[18:19], v[82:83]
	v_add_f64 v[96:97], v[26:27], -v[24:25]
	v_add_f64 v[86:87], v[48:49], v[42:43]
	v_mul_f64 v[104:105], v[98:99], s[22:23]
	v_fma_f64 v[112:113], s[10:11], v[90:91], v[108:109]
	;; [unrolled: 9-line block ×3, first 2 shown]
	v_add_f64 v[112:113], v[112:113], v[116:117]
	v_fma_f64 v[4:5], s[12:13], v[60:61], v[8:9]
	v_add_f64 v[6:7], v[6:7], v[16:17]
	v_add_f64 v[82:83], v[28:29], v[30:31]
	v_mul_f64 v[16:17], v[94:95], s[20:21]
	v_fma_f64 v[102:103], s[2:3], v[84:85], v[18:19]
	v_add_f64 v[106:107], v[106:107], v[112:113]
	v_add_f64 v[6:7], v[4:5], v[6:7]
	v_fma_f64 v[4:5], s[0:1], v[82:83], v[16:17]
	v_add_f64 v[102:103], v[102:103], v[106:107]
	v_fmac_f64_e32 v[110:111], s[26:27], v[68:69]
	v_add_f64 v[4:5], v[4:5], v[102:103]
	v_fmac_f64_e32 v[14:15], s[30:31], v[66:67]
	;; [unrolled: 2-line block ×5, first 2 shown]
	v_add_f64 v[10:11], v[10:11], v[12:13]
	v_fma_f64 v[12:13], v[84:85], s[2:3], -v[18:19]
	v_fma_f64 v[18:19], v[92:93], s[18:19], -v[114:115]
	v_mul_f64 v[110:111], v[88:89], s[4:5]
	v_add_f64 v[10:11], v[8:9], v[10:11]
	v_fma_f64 v[8:9], v[82:83], s[0:1], -v[16:17]
	v_fma_f64 v[16:17], v[90:91], s[10:11], -v[108:109]
	v_add_f64 v[18:19], v[0:1], v[18:19]
	v_mul_f64 v[106:107], v[80:81], s[0:1]
	v_fma_f64 v[112:113], s[14:15], v[68:69], v[110:111]
	v_fmac_f64_e32 v[110:111], s[22:23], v[68:69]
	v_fma_f64 v[14:15], v[86:87], s[4:5], -v[104:105]
	v_add_f64 v[16:17], v[16:17], v[18:19]
	v_mul_f64 v[102:103], v[74:75], s[10:11]
	v_fma_f64 v[108:109], s[20:21], v[66:67], v[106:107]
	v_add_f64 v[112:113], v[2:3], v[112:113]
	v_mul_f64 v[124:125], v[118:119], s[22:23]
	v_fmac_f64_e32 v[106:107], s[12:13], v[66:67]
	v_add_f64 v[110:111], v[2:3], v[110:111]
	v_add_f64 v[14:15], v[14:15], v[16:17]
	v_mul_f64 v[18:19], v[72:73], s[18:19]
	v_fma_f64 v[104:105], s[30:31], v[64:65], v[102:103]
	v_add_f64 v[108:109], v[108:109], v[112:113]
	v_mul_f64 v[120:121], v[100:101], s[12:13]
	v_fma_f64 v[126:127], s[4:5], v[92:93], v[124:125]
	v_fmac_f64_e32 v[102:103], s[16:17], v[64:65]
	v_add_f64 v[106:107], v[106:107], v[110:111]
	v_add_f64 v[12:13], v[12:13], v[14:15]
	v_mul_f64 v[16:17], v[70:71], s[2:3]
	v_fma_f64 v[14:15], s[24:25], v[62:63], v[18:19]
	v_add_f64 v[104:105], v[104:105], v[108:109]
	v_mul_f64 v[108:109], v[96:97], s[26:27]
	v_mul_f64 v[114:115], v[98:99], s[16:17]
	v_fma_f64 v[122:123], s[0:1], v[90:91], v[120:121]
	v_add_f64 v[126:127], v[0:1], v[126:127]
	v_fmac_f64_e32 v[18:19], s[26:27], v[62:63]
	v_add_f64 v[102:103], v[102:103], v[106:107]
	v_add_f64 v[8:9], v[8:9], v[12:13]
	v_fma_f64 v[12:13], s[6:7], v[60:61], v[16:17]
	v_add_f64 v[14:15], v[14:15], v[104:105]
	v_mul_f64 v[104:105], v[94:95], s[28:29]
	v_fma_f64 v[112:113], s[18:19], v[84:85], v[108:109]
	v_fma_f64 v[116:117], s[10:11], v[86:87], v[114:115]
	v_add_f64 v[122:123], v[122:123], v[126:127]
	v_fmac_f64_e32 v[16:17], s[28:29], v[60:61]
	v_add_f64 v[18:19], v[18:19], v[102:103]
	v_fma_f64 v[102:103], v[84:85], s[18:19], -v[108:109]
	v_fma_f64 v[106:107], v[90:91], s[0:1], -v[120:121]
	;; [unrolled: 1-line block ×3, first 2 shown]
	v_mul_f64 v[120:121], v[88:89], s[0:1]
	v_add_f64 v[14:15], v[12:13], v[14:15]
	v_fma_f64 v[12:13], s[2:3], v[82:83], v[104:105]
	v_add_f64 v[116:117], v[116:117], v[122:123]
	v_add_f64 v[18:19], v[16:17], v[18:19]
	v_fma_f64 v[16:17], v[82:83], s[2:3], -v[104:105]
	v_fma_f64 v[104:105], v[86:87], s[10:11], -v[114:115]
	v_add_f64 v[108:109], v[0:1], v[108:109]
	v_mul_f64 v[114:115], v[80:81], s[18:19]
	v_fma_f64 v[122:123], s[12:13], v[68:69], v[120:121]
	v_fmac_f64_e32 v[120:121], s[20:21], v[68:69]
	v_add_f64 v[112:113], v[112:113], v[116:117]
	v_add_f64 v[106:107], v[106:107], v[108:109]
	v_mul_f64 v[110:111], v[74:75], s[2:3]
	v_fma_f64 v[116:117], s[26:27], v[66:67], v[114:115]
	v_add_f64 v[122:123], v[2:3], v[122:123]
	v_mul_f64 v[132:133], v[118:119], s[20:21]
	v_fmac_f64_e32 v[114:115], s[24:25], v[66:67]
	v_add_f64 v[120:121], v[2:3], v[120:121]
	v_add_f64 v[12:13], v[12:13], v[112:113]
	;; [unrolled: 1-line block ×3, first 2 shown]
	v_mul_f64 v[108:109], v[72:73], s[10:11]
	v_fma_f64 v[112:113], s[6:7], v[64:65], v[110:111]
	v_add_f64 v[116:117], v[116:117], v[122:123]
	v_mul_f64 v[128:129], v[100:101], s[24:25]
	v_fma_f64 v[134:135], s[0:1], v[92:93], v[132:133]
	v_fmac_f64_e32 v[110:111], s[28:29], v[64:65]
	v_add_f64 v[114:115], v[114:115], v[120:121]
	v_add_f64 v[102:103], v[102:103], v[104:105]
	v_mul_f64 v[106:107], v[70:71], s[4:5]
	v_fma_f64 v[104:105], s[30:31], v[62:63], v[108:109]
	v_add_f64 v[112:113], v[112:113], v[116:117]
	v_mul_f64 v[116:117], v[96:97], s[16:17]
	v_mul_f64 v[124:125], v[98:99], s[28:29]
	v_fma_f64 v[130:131], s[18:19], v[90:91], v[128:129]
	v_add_f64 v[134:135], v[0:1], v[134:135]
	v_fmac_f64_e32 v[108:109], s[16:17], v[62:63]
	v_add_f64 v[110:111], v[110:111], v[114:115]
	v_add_f64 v[16:17], v[16:17], v[102:103]
	v_fma_f64 v[102:103], s[14:15], v[60:61], v[106:107]
	v_add_f64 v[104:105], v[104:105], v[112:113]
	v_mul_f64 v[112:113], v[94:95], s[22:23]
	v_fma_f64 v[122:123], s[10:11], v[84:85], v[116:117]
	v_fma_f64 v[126:127], s[2:3], v[86:87], v[124:125]
	v_add_f64 v[130:131], v[130:131], v[134:135]
	v_fmac_f64_e32 v[106:107], s[22:23], v[60:61]
	v_add_f64 v[108:109], v[108:109], v[110:111]
	v_fma_f64 v[110:111], v[84:85], s[10:11], -v[116:117]
	v_fma_f64 v[114:115], v[90:91], s[18:19], -v[128:129]
	;; [unrolled: 1-line block ×3, first 2 shown]
	v_mul_f64 v[128:129], v[88:89], s[2:3]
	v_add_f64 v[104:105], v[102:103], v[104:105]
	v_fma_f64 v[102:103], s[4:5], v[82:83], v[112:113]
	v_add_f64 v[126:127], v[126:127], v[130:131]
	v_add_f64 v[108:109], v[106:107], v[108:109]
	v_fma_f64 v[106:107], v[82:83], s[4:5], -v[112:113]
	v_fma_f64 v[112:113], v[86:87], s[2:3], -v[124:125]
	v_add_f64 v[116:117], v[0:1], v[116:117]
	v_mul_f64 v[124:125], v[80:81], s[4:5]
	v_fma_f64 v[130:131], s[28:29], v[68:69], v[128:129]
	v_fmac_f64_e32 v[128:129], s[6:7], v[68:69]
	v_add_f64 v[122:123], v[122:123], v[126:127]
	v_add_f64 v[114:115], v[114:115], v[116:117]
	v_mul_f64 v[120:121], v[74:75], s[18:19]
	v_fma_f64 v[126:127], s[14:15], v[66:67], v[124:125]
	v_add_f64 v[130:131], v[2:3], v[130:131]
	v_fmac_f64_e32 v[124:125], s[22:23], v[66:67]
	v_add_f64 v[128:129], v[2:3], v[128:129]
	v_add_f64 v[102:103], v[102:103], v[122:123]
	;; [unrolled: 1-line block ×3, first 2 shown]
	v_mul_f64 v[116:117], v[72:73], s[0:1]
	v_fma_f64 v[122:123], s[26:27], v[64:65], v[120:121]
	v_add_f64 v[126:127], v[126:127], v[130:131]
	v_fmac_f64_e32 v[120:121], s[24:25], v[64:65]
	v_add_f64 v[124:125], v[124:125], v[128:129]
	v_add_f64 v[110:111], v[110:111], v[112:113]
	v_fma_f64 v[112:113], s[20:21], v[62:63], v[116:117]
	v_add_f64 v[122:123], v[122:123], v[126:127]
	v_mul_f64 v[126:127], v[96:97], s[12:13]
	v_mul_f64 v[140:141], v[118:119], s[6:7]
	v_fmac_f64_e32 v[116:117], s[12:13], v[62:63]
	v_add_f64 v[120:121], v[120:121], v[124:125]
	v_mul_f64 v[114:115], v[70:71], s[10:11]
	v_fma_f64 v[130:131], s[0:1], v[84:85], v[126:127]
	v_mul_f64 v[136:137], v[100:101], s[22:23]
	v_add_f64 v[116:117], v[116:117], v[120:121]
	v_fma_f64 v[120:121], v[84:85], s[0:1], -v[126:127]
	v_fma_f64 v[126:127], v[92:93], s[2:3], -v[140:141]
	v_add_f64 v[106:107], v[106:107], v[110:111]
	v_fma_f64 v[110:111], s[16:17], v[60:61], v[114:115]
	v_add_f64 v[112:113], v[112:113], v[122:123]
	v_mul_f64 v[122:123], v[94:95], s[30:31]
	v_mul_f64 v[132:133], v[98:99], s[24:25]
	v_fmac_f64_e32 v[114:115], s[30:31], v[60:61]
	v_fma_f64 v[124:125], v[90:91], s[4:5], -v[136:137]
	v_add_f64 v[126:127], v[0:1], v[126:127]
	v_add_f64 v[112:113], v[110:111], v[112:113]
	v_fma_f64 v[110:111], s[10:11], v[82:83], v[122:123]
	v_add_f64 v[116:117], v[114:115], v[116:117]
	v_fma_f64 v[114:115], v[82:83], s[10:11], -v[122:123]
	v_fma_f64 v[122:123], v[86:87], s[18:19], -v[132:133]
	v_add_f64 v[124:125], v[124:125], v[126:127]
	v_fma_f64 v[142:143], s[2:3], v[92:93], v[140:141]
	v_add_f64 v[122:123], v[122:123], v[124:125]
	v_fma_f64 v[138:139], s[4:5], v[90:91], v[136:137]
	v_add_f64 v[142:143], v[0:1], v[142:143]
	v_add_f64 v[120:121], v[120:121], v[122:123]
	v_mul_f64 v[88:89], v[88:89], s[10:11]
	v_fma_f64 v[134:135], s[18:19], v[86:87], v[132:133]
	v_add_f64 v[138:139], v[138:139], v[142:143]
	v_add_f64 v[114:115], v[114:115], v[120:121]
	v_mul_f64 v[120:121], v[70:71], s[18:19]
	v_mul_f64 v[80:81], v[80:81], s[2:3]
	v_fma_f64 v[128:129], s[30:31], v[68:69], v[88:89]
	v_fmac_f64_e32 v[88:89], s[16:17], v[68:69]
	v_add_f64 v[134:135], v[134:135], v[138:139]
	v_fma_f64 v[70:71], s[24:25], v[60:61], v[120:121]
	v_mul_f64 v[74:75], v[74:75], s[0:1]
	v_fma_f64 v[126:127], s[28:29], v[66:67], v[80:81]
	v_fmac_f64_e32 v[120:121], s[26:27], v[60:61]
	v_fmac_f64_e32 v[80:81], s[6:7], v[66:67]
	v_add_f64 v[60:61], v[2:3], v[88:89]
	v_add_f64 v[130:131], v[130:131], v[134:135]
	v_fma_f64 v[124:125], s[12:13], v[64:65], v[74:75]
	v_mul_f64 v[118:119], v[118:119], s[16:17]
	v_fmac_f64_e32 v[74:75], s[20:21], v[64:65]
	v_add_f64 v[60:61], v[80:81], v[60:61]
	v_add_f64 v[110:111], v[110:111], v[130:131]
	v_fma_f64 v[130:131], s[10:11], v[92:93], v[118:119]
	v_add_f64 v[60:61], v[74:75], v[60:61]
	v_fma_f64 v[74:75], v[92:93], s[10:11], -v[118:119]
	v_add_f64 v[128:129], v[2:3], v[128:129]
	v_add_f64 v[130:131], v[0:1], v[130:131]
	;; [unrolled: 1-line block ×13, first 2 shown]
	v_mul_f64 v[100:101], v[100:101], s[6:7]
	v_add_f64 v[2:3], v[22:23], v[2:3]
	v_add_f64 v[0:1], v[30:31], v[0:1]
	v_mul_f64 v[122:123], v[72:73], s[4:5]
	v_mul_f64 v[98:99], v[98:99], s[20:21]
	v_fma_f64 v[68:69], v[90:91], s[2:3], -v[100:101]
	v_add_f64 v[2:3], v[24:25], v[2:3]
	v_add_f64 v[0:1], v[34:35], v[0:1]
	v_fma_f64 v[72:73], s[14:15], v[62:63], v[122:123]
	v_mul_f64 v[96:97], v[96:97], s[22:23]
	v_fmac_f64_e32 v[122:123], s[22:23], v[62:63]
	v_fma_f64 v[66:67], v[86:87], s[0:1], -v[98:99]
	v_add_f64 v[68:69], v[68:69], v[74:75]
	v_add_f64 v[2:3], v[32:33], v[2:3]
	;; [unrolled: 1-line block ×4, first 2 shown]
	v_mul_f64 v[94:95], v[94:95], s[26:27]
	v_fma_f64 v[128:129], s[2:3], v[90:91], v[100:101]
	v_add_f64 v[60:61], v[122:123], v[60:61]
	v_fma_f64 v[64:65], v[84:85], s[4:5], -v[96:97]
	v_add_f64 v[66:67], v[66:67], v[68:69]
	v_add_f64 v[2:3], v[36:37], v[2:3]
	;; [unrolled: 1-line block ×3, first 2 shown]
	v_lshl_add_u64 v[20:21], v[76:77], 4, s[8:9]
	v_add_f64 v[124:125], v[124:125], v[126:127]
	v_fma_f64 v[126:127], s[0:1], v[86:87], v[98:99]
	v_add_f64 v[128:129], v[128:129], v[130:131]
	v_add_f64 v[62:63], v[120:121], v[60:61]
	v_fma_f64 v[60:61], v[82:83], s[18:19], -v[94:95]
	v_add_f64 v[64:65], v[64:65], v[66:67]
	v_add_f64 v[2:3], v[54:55], v[2:3]
	;; [unrolled: 1-line block ×3, first 2 shown]
	v_lshl_add_u64 v[20:21], v[78:79], 4, v[20:21]
	v_add_f64 v[72:73], v[72:73], v[124:125]
	v_fma_f64 v[124:125], s[4:5], v[84:85], v[96:97]
	v_add_f64 v[126:127], v[126:127], v[128:129]
	v_add_f64 v[60:61], v[60:61], v[64:65]
	global_store_dwordx4 v[20:21], v[0:3], off
	global_store_dwordx4 v[20:21], v[60:63], off offset:624
	global_store_dwordx4 v[20:21], v[114:117], off offset:1248
	;; [unrolled: 1-line block ×6, first 2 shown]
	v_add_co_u32_e32 v0, vcc, 0x1000, v20
	v_add_f64 v[72:73], v[70:71], v[72:73]
	v_fma_f64 v[70:71], s[18:19], v[82:83], v[94:95]
	v_add_f64 v[124:125], v[124:125], v[126:127]
	v_addc_co_u32_e32 v1, vcc, 0, v21, vcc
	v_add_f64 v[70:71], v[70:71], v[124:125]
	global_store_dwordx4 v[0:1], v[12:15], off offset:272
	global_store_dwordx4 v[0:1], v[102:105], off offset:896
	;; [unrolled: 1-line block ×4, first 2 shown]
.LBB0_20:
	s_endpgm
	.section	.rodata,"a",@progbits
	.p2align	6, 0x0
	.amdhsa_kernel fft_rtc_fwd_len429_factors_13_3_11_wgs_117_tpt_39_dp_ip_CI_unitstride_sbrr_dirReg
		.amdhsa_group_segment_fixed_size 0
		.amdhsa_private_segment_fixed_size 0
		.amdhsa_kernarg_size 88
		.amdhsa_user_sgpr_count 2
		.amdhsa_user_sgpr_dispatch_ptr 0
		.amdhsa_user_sgpr_queue_ptr 0
		.amdhsa_user_sgpr_kernarg_segment_ptr 1
		.amdhsa_user_sgpr_dispatch_id 0
		.amdhsa_user_sgpr_kernarg_preload_length 0
		.amdhsa_user_sgpr_kernarg_preload_offset 0
		.amdhsa_user_sgpr_private_segment_size 0
		.amdhsa_uses_dynamic_stack 0
		.amdhsa_enable_private_segment 0
		.amdhsa_system_sgpr_workgroup_id_x 1
		.amdhsa_system_sgpr_workgroup_id_y 0
		.amdhsa_system_sgpr_workgroup_id_z 0
		.amdhsa_system_sgpr_workgroup_info 0
		.amdhsa_system_vgpr_workitem_id 0
		.amdhsa_next_free_vgpr 256
		.amdhsa_next_free_sgpr 44
		.amdhsa_accum_offset 256
		.amdhsa_reserve_vcc 1
		.amdhsa_float_round_mode_32 0
		.amdhsa_float_round_mode_16_64 0
		.amdhsa_float_denorm_mode_32 3
		.amdhsa_float_denorm_mode_16_64 3
		.amdhsa_dx10_clamp 1
		.amdhsa_ieee_mode 1
		.amdhsa_fp16_overflow 0
		.amdhsa_tg_split 0
		.amdhsa_exception_fp_ieee_invalid_op 0
		.amdhsa_exception_fp_denorm_src 0
		.amdhsa_exception_fp_ieee_div_zero 0
		.amdhsa_exception_fp_ieee_overflow 0
		.amdhsa_exception_fp_ieee_underflow 0
		.amdhsa_exception_fp_ieee_inexact 0
		.amdhsa_exception_int_div_zero 0
	.end_amdhsa_kernel
	.text
.Lfunc_end0:
	.size	fft_rtc_fwd_len429_factors_13_3_11_wgs_117_tpt_39_dp_ip_CI_unitstride_sbrr_dirReg, .Lfunc_end0-fft_rtc_fwd_len429_factors_13_3_11_wgs_117_tpt_39_dp_ip_CI_unitstride_sbrr_dirReg
                                        ; -- End function
	.section	.AMDGPU.csdata,"",@progbits
; Kernel info:
; codeLenInByte = 9616
; NumSgprs: 50
; NumVgprs: 256
; NumAgprs: 0
; TotalNumVgprs: 256
; ScratchSize: 0
; MemoryBound: 1
; FloatMode: 240
; IeeeMode: 1
; LDSByteSize: 0 bytes/workgroup (compile time only)
; SGPRBlocks: 6
; VGPRBlocks: 31
; NumSGPRsForWavesPerEU: 50
; NumVGPRsForWavesPerEU: 256
; AccumOffset: 256
; Occupancy: 2
; WaveLimiterHint : 1
; COMPUTE_PGM_RSRC2:SCRATCH_EN: 0
; COMPUTE_PGM_RSRC2:USER_SGPR: 2
; COMPUTE_PGM_RSRC2:TRAP_HANDLER: 0
; COMPUTE_PGM_RSRC2:TGID_X_EN: 1
; COMPUTE_PGM_RSRC2:TGID_Y_EN: 0
; COMPUTE_PGM_RSRC2:TGID_Z_EN: 0
; COMPUTE_PGM_RSRC2:TIDIG_COMP_CNT: 0
; COMPUTE_PGM_RSRC3_GFX90A:ACCUM_OFFSET: 63
; COMPUTE_PGM_RSRC3_GFX90A:TG_SPLIT: 0
	.text
	.p2alignl 6, 3212836864
	.fill 256, 4, 3212836864
	.type	__hip_cuid_2ebde129fc1aac15,@object ; @__hip_cuid_2ebde129fc1aac15
	.section	.bss,"aw",@nobits
	.globl	__hip_cuid_2ebde129fc1aac15
__hip_cuid_2ebde129fc1aac15:
	.byte	0                               ; 0x0
	.size	__hip_cuid_2ebde129fc1aac15, 1

	.ident	"AMD clang version 19.0.0git (https://github.com/RadeonOpenCompute/llvm-project roc-6.4.0 25133 c7fe45cf4b819c5991fe208aaa96edf142730f1d)"
	.section	".note.GNU-stack","",@progbits
	.addrsig
	.addrsig_sym __hip_cuid_2ebde129fc1aac15
	.amdgpu_metadata
---
amdhsa.kernels:
  - .agpr_count:     0
    .args:
      - .actual_access:  read_only
        .address_space:  global
        .offset:         0
        .size:           8
        .value_kind:     global_buffer
      - .offset:         8
        .size:           8
        .value_kind:     by_value
      - .actual_access:  read_only
        .address_space:  global
        .offset:         16
        .size:           8
        .value_kind:     global_buffer
      - .actual_access:  read_only
        .address_space:  global
        .offset:         24
        .size:           8
        .value_kind:     global_buffer
      - .offset:         32
        .size:           8
        .value_kind:     by_value
      - .actual_access:  read_only
        .address_space:  global
        .offset:         40
        .size:           8
        .value_kind:     global_buffer
      - .actual_access:  read_only
        .address_space:  global
        .offset:         48
        .size:           8
        .value_kind:     global_buffer
      - .offset:         56
        .size:           4
        .value_kind:     by_value
      - .actual_access:  read_only
        .address_space:  global
        .offset:         64
        .size:           8
        .value_kind:     global_buffer
      - .actual_access:  read_only
        .address_space:  global
        .offset:         72
        .size:           8
        .value_kind:     global_buffer
      - .address_space:  global
        .offset:         80
        .size:           8
        .value_kind:     global_buffer
    .group_segment_fixed_size: 0
    .kernarg_segment_align: 8
    .kernarg_segment_size: 88
    .language:       OpenCL C
    .language_version:
      - 2
      - 0
    .max_flat_workgroup_size: 117
    .name:           fft_rtc_fwd_len429_factors_13_3_11_wgs_117_tpt_39_dp_ip_CI_unitstride_sbrr_dirReg
    .private_segment_fixed_size: 0
    .sgpr_count:     50
    .sgpr_spill_count: 0
    .symbol:         fft_rtc_fwd_len429_factors_13_3_11_wgs_117_tpt_39_dp_ip_CI_unitstride_sbrr_dirReg.kd
    .uniform_work_group_size: 1
    .uses_dynamic_stack: false
    .vgpr_count:     256
    .vgpr_spill_count: 0
    .wavefront_size: 64
amdhsa.target:   amdgcn-amd-amdhsa--gfx950
amdhsa.version:
  - 1
  - 2
...

	.end_amdgpu_metadata
